;; amdgpu-corpus repo=ROCm/rocFFT kind=compiled arch=gfx1201 opt=O3
	.text
	.amdgcn_target "amdgcn-amd-amdhsa--gfx1201"
	.amdhsa_code_object_version 6
	.protected	fft_rtc_fwd_len840_factors_2_2_2_3_5_7_wgs_56_tpt_56_halfLds_dp_ip_CI_unitstride_sbrr_C2R_dirReg ; -- Begin function fft_rtc_fwd_len840_factors_2_2_2_3_5_7_wgs_56_tpt_56_halfLds_dp_ip_CI_unitstride_sbrr_C2R_dirReg
	.globl	fft_rtc_fwd_len840_factors_2_2_2_3_5_7_wgs_56_tpt_56_halfLds_dp_ip_CI_unitstride_sbrr_C2R_dirReg
	.p2align	8
	.type	fft_rtc_fwd_len840_factors_2_2_2_3_5_7_wgs_56_tpt_56_halfLds_dp_ip_CI_unitstride_sbrr_C2R_dirReg,@function
fft_rtc_fwd_len840_factors_2_2_2_3_5_7_wgs_56_tpt_56_halfLds_dp_ip_CI_unitstride_sbrr_C2R_dirReg: ; @fft_rtc_fwd_len840_factors_2_2_2_3_5_7_wgs_56_tpt_56_halfLds_dp_ip_CI_unitstride_sbrr_C2R_dirReg
; %bb.0:
	s_clause 0x2
	s_load_b128 s[4:7], s[0:1], 0x0
	s_load_b64 s[8:9], s[0:1], 0x50
	s_load_b64 s[10:11], s[0:1], 0x18
	v_mul_u32_u24_e32 v1, 0x493, v0
	v_mov_b32_e32 v3, 0
	s_delay_alu instid0(VALU_DEP_2) | instskip(NEXT) | instid1(VALU_DEP_1)
	v_lshrrev_b32_e32 v1, 16, v1
	v_add_nc_u32_e32 v5, ttmp9, v1
	v_mov_b32_e32 v1, 0
	v_mov_b32_e32 v2, 0
	;; [unrolled: 1-line block ×3, first 2 shown]
	s_wait_kmcnt 0x0
	v_cmp_lt_u64_e64 s2, s[6:7], 2
	s_delay_alu instid0(VALU_DEP_1)
	s_and_b32 vcc_lo, exec_lo, s2
	s_cbranch_vccnz .LBB0_8
; %bb.1:
	s_load_b64 s[2:3], s[0:1], 0x10
	v_mov_b32_e32 v1, 0
	v_mov_b32_e32 v2, 0
	s_add_nc_u64 s[12:13], s[10:11], 8
	s_mov_b64 s[14:15], 1
	s_wait_kmcnt 0x0
	s_add_nc_u64 s[16:17], s[2:3], 8
	s_mov_b32 s3, 0
.LBB0_2:                                ; =>This Inner Loop Header: Depth=1
	s_load_b64 s[18:19], s[16:17], 0x0
                                        ; implicit-def: $vgpr7_vgpr8
	s_mov_b32 s2, exec_lo
	s_wait_kmcnt 0x0
	v_or_b32_e32 v4, s19, v6
	s_delay_alu instid0(VALU_DEP_1)
	v_cmpx_ne_u64_e32 0, v[3:4]
	s_wait_alu 0xfffe
	s_xor_b32 s20, exec_lo, s2
	s_cbranch_execz .LBB0_4
; %bb.3:                                ;   in Loop: Header=BB0_2 Depth=1
	s_cvt_f32_u32 s2, s18
	s_cvt_f32_u32 s21, s19
	s_sub_nc_u64 s[24:25], 0, s[18:19]
	s_wait_alu 0xfffe
	s_delay_alu instid0(SALU_CYCLE_1) | instskip(SKIP_1) | instid1(SALU_CYCLE_2)
	s_fmamk_f32 s2, s21, 0x4f800000, s2
	s_wait_alu 0xfffe
	v_s_rcp_f32 s2, s2
	s_delay_alu instid0(TRANS32_DEP_1) | instskip(SKIP_1) | instid1(SALU_CYCLE_2)
	s_mul_f32 s2, s2, 0x5f7ffffc
	s_wait_alu 0xfffe
	s_mul_f32 s21, s2, 0x2f800000
	s_wait_alu 0xfffe
	s_delay_alu instid0(SALU_CYCLE_2) | instskip(SKIP_1) | instid1(SALU_CYCLE_2)
	s_trunc_f32 s21, s21
	s_wait_alu 0xfffe
	s_fmamk_f32 s2, s21, 0xcf800000, s2
	s_cvt_u32_f32 s23, s21
	s_wait_alu 0xfffe
	s_delay_alu instid0(SALU_CYCLE_1) | instskip(SKIP_1) | instid1(SALU_CYCLE_2)
	s_cvt_u32_f32 s22, s2
	s_wait_alu 0xfffe
	s_mul_u64 s[26:27], s[24:25], s[22:23]
	s_wait_alu 0xfffe
	s_mul_hi_u32 s29, s22, s27
	s_mul_i32 s28, s22, s27
	s_mul_hi_u32 s2, s22, s26
	s_mul_i32 s30, s23, s26
	s_wait_alu 0xfffe
	s_add_nc_u64 s[28:29], s[2:3], s[28:29]
	s_mul_hi_u32 s21, s23, s26
	s_mul_hi_u32 s31, s23, s27
	s_add_co_u32 s2, s28, s30
	s_wait_alu 0xfffe
	s_add_co_ci_u32 s2, s29, s21
	s_mul_i32 s26, s23, s27
	s_add_co_ci_u32 s27, s31, 0
	s_wait_alu 0xfffe
	s_add_nc_u64 s[26:27], s[2:3], s[26:27]
	s_wait_alu 0xfffe
	v_add_co_u32 v4, s2, s22, s26
	s_delay_alu instid0(VALU_DEP_1) | instskip(SKIP_1) | instid1(VALU_DEP_1)
	s_cmp_lg_u32 s2, 0
	s_add_co_ci_u32 s23, s23, s27
	v_readfirstlane_b32 s22, v4
	s_wait_alu 0xfffe
	s_delay_alu instid0(VALU_DEP_1)
	s_mul_u64 s[24:25], s[24:25], s[22:23]
	s_wait_alu 0xfffe
	s_mul_hi_u32 s27, s22, s25
	s_mul_i32 s26, s22, s25
	s_mul_hi_u32 s2, s22, s24
	s_mul_i32 s28, s23, s24
	s_wait_alu 0xfffe
	s_add_nc_u64 s[26:27], s[2:3], s[26:27]
	s_mul_hi_u32 s21, s23, s24
	s_mul_hi_u32 s22, s23, s25
	s_wait_alu 0xfffe
	s_add_co_u32 s2, s26, s28
	s_add_co_ci_u32 s2, s27, s21
	s_mul_i32 s24, s23, s25
	s_add_co_ci_u32 s25, s22, 0
	s_wait_alu 0xfffe
	s_add_nc_u64 s[24:25], s[2:3], s[24:25]
	s_wait_alu 0xfffe
	v_add_co_u32 v4, s2, v4, s24
	s_delay_alu instid0(VALU_DEP_1) | instskip(SKIP_1) | instid1(VALU_DEP_1)
	s_cmp_lg_u32 s2, 0
	s_add_co_ci_u32 s2, s23, s25
	v_mul_hi_u32 v13, v5, v4
	s_wait_alu 0xfffe
	v_mad_co_u64_u32 v[7:8], null, v5, s2, 0
	v_mad_co_u64_u32 v[9:10], null, v6, v4, 0
	;; [unrolled: 1-line block ×3, first 2 shown]
	s_delay_alu instid0(VALU_DEP_3) | instskip(SKIP_1) | instid1(VALU_DEP_4)
	v_add_co_u32 v4, vcc_lo, v13, v7
	s_wait_alu 0xfffd
	v_add_co_ci_u32_e32 v7, vcc_lo, 0, v8, vcc_lo
	s_delay_alu instid0(VALU_DEP_2) | instskip(SKIP_1) | instid1(VALU_DEP_2)
	v_add_co_u32 v4, vcc_lo, v4, v9
	s_wait_alu 0xfffd
	v_add_co_ci_u32_e32 v4, vcc_lo, v7, v10, vcc_lo
	s_wait_alu 0xfffd
	v_add_co_ci_u32_e32 v7, vcc_lo, 0, v12, vcc_lo
	s_delay_alu instid0(VALU_DEP_2) | instskip(SKIP_1) | instid1(VALU_DEP_2)
	v_add_co_u32 v4, vcc_lo, v4, v11
	s_wait_alu 0xfffd
	v_add_co_ci_u32_e32 v9, vcc_lo, 0, v7, vcc_lo
	s_delay_alu instid0(VALU_DEP_2) | instskip(SKIP_1) | instid1(VALU_DEP_3)
	v_mul_lo_u32 v10, s19, v4
	v_mad_co_u64_u32 v[7:8], null, s18, v4, 0
	v_mul_lo_u32 v11, s18, v9
	s_delay_alu instid0(VALU_DEP_2) | instskip(NEXT) | instid1(VALU_DEP_2)
	v_sub_co_u32 v7, vcc_lo, v5, v7
	v_add3_u32 v8, v8, v11, v10
	s_delay_alu instid0(VALU_DEP_1) | instskip(SKIP_1) | instid1(VALU_DEP_1)
	v_sub_nc_u32_e32 v10, v6, v8
	s_wait_alu 0xfffd
	v_subrev_co_ci_u32_e64 v10, s2, s19, v10, vcc_lo
	v_add_co_u32 v11, s2, v4, 2
	s_wait_alu 0xf1ff
	v_add_co_ci_u32_e64 v12, s2, 0, v9, s2
	v_sub_co_u32 v13, s2, v7, s18
	v_sub_co_ci_u32_e32 v8, vcc_lo, v6, v8, vcc_lo
	s_wait_alu 0xf1ff
	v_subrev_co_ci_u32_e64 v10, s2, 0, v10, s2
	s_delay_alu instid0(VALU_DEP_3) | instskip(NEXT) | instid1(VALU_DEP_3)
	v_cmp_le_u32_e32 vcc_lo, s18, v13
	v_cmp_eq_u32_e64 s2, s19, v8
	s_wait_alu 0xfffd
	v_cndmask_b32_e64 v13, 0, -1, vcc_lo
	v_cmp_le_u32_e32 vcc_lo, s19, v10
	s_wait_alu 0xfffd
	v_cndmask_b32_e64 v14, 0, -1, vcc_lo
	v_cmp_le_u32_e32 vcc_lo, s18, v7
	;; [unrolled: 3-line block ×3, first 2 shown]
	s_wait_alu 0xfffd
	v_cndmask_b32_e64 v15, 0, -1, vcc_lo
	v_cmp_eq_u32_e32 vcc_lo, s19, v10
	s_wait_alu 0xf1ff
	s_delay_alu instid0(VALU_DEP_2)
	v_cndmask_b32_e64 v7, v15, v7, s2
	s_wait_alu 0xfffd
	v_cndmask_b32_e32 v10, v14, v13, vcc_lo
	v_add_co_u32 v13, vcc_lo, v4, 1
	s_wait_alu 0xfffd
	v_add_co_ci_u32_e32 v14, vcc_lo, 0, v9, vcc_lo
	s_delay_alu instid0(VALU_DEP_3) | instskip(SKIP_2) | instid1(VALU_DEP_3)
	v_cmp_ne_u32_e32 vcc_lo, 0, v10
	s_wait_alu 0xfffd
	v_cndmask_b32_e32 v10, v13, v11, vcc_lo
	v_cndmask_b32_e32 v8, v14, v12, vcc_lo
	v_cmp_ne_u32_e32 vcc_lo, 0, v7
	s_wait_alu 0xfffd
	s_delay_alu instid0(VALU_DEP_2)
	v_dual_cndmask_b32 v7, v4, v10 :: v_dual_cndmask_b32 v8, v9, v8
.LBB0_4:                                ;   in Loop: Header=BB0_2 Depth=1
	s_wait_alu 0xfffe
	s_and_not1_saveexec_b32 s2, s20
	s_cbranch_execz .LBB0_6
; %bb.5:                                ;   in Loop: Header=BB0_2 Depth=1
	v_cvt_f32_u32_e32 v4, s18
	s_sub_co_i32 s20, 0, s18
	s_delay_alu instid0(VALU_DEP_1) | instskip(NEXT) | instid1(TRANS32_DEP_1)
	v_rcp_iflag_f32_e32 v4, v4
	v_mul_f32_e32 v4, 0x4f7ffffe, v4
	s_delay_alu instid0(VALU_DEP_1) | instskip(SKIP_1) | instid1(VALU_DEP_1)
	v_cvt_u32_f32_e32 v4, v4
	s_wait_alu 0xfffe
	v_mul_lo_u32 v7, s20, v4
	s_delay_alu instid0(VALU_DEP_1) | instskip(NEXT) | instid1(VALU_DEP_1)
	v_mul_hi_u32 v7, v4, v7
	v_add_nc_u32_e32 v4, v4, v7
	s_delay_alu instid0(VALU_DEP_1) | instskip(NEXT) | instid1(VALU_DEP_1)
	v_mul_hi_u32 v4, v5, v4
	v_mul_lo_u32 v7, v4, s18
	v_add_nc_u32_e32 v8, 1, v4
	s_delay_alu instid0(VALU_DEP_2) | instskip(NEXT) | instid1(VALU_DEP_1)
	v_sub_nc_u32_e32 v7, v5, v7
	v_subrev_nc_u32_e32 v9, s18, v7
	v_cmp_le_u32_e32 vcc_lo, s18, v7
	s_wait_alu 0xfffd
	s_delay_alu instid0(VALU_DEP_2) | instskip(NEXT) | instid1(VALU_DEP_1)
	v_dual_cndmask_b32 v7, v7, v9 :: v_dual_cndmask_b32 v4, v4, v8
	v_cmp_le_u32_e32 vcc_lo, s18, v7
	s_delay_alu instid0(VALU_DEP_2) | instskip(SKIP_1) | instid1(VALU_DEP_1)
	v_add_nc_u32_e32 v8, 1, v4
	s_wait_alu 0xfffd
	v_dual_cndmask_b32 v7, v4, v8 :: v_dual_mov_b32 v8, v3
.LBB0_6:                                ;   in Loop: Header=BB0_2 Depth=1
	s_wait_alu 0xfffe
	s_or_b32 exec_lo, exec_lo, s2
	s_load_b64 s[20:21], s[12:13], 0x0
	s_delay_alu instid0(VALU_DEP_1)
	v_mul_lo_u32 v4, v8, s18
	v_mul_lo_u32 v11, v7, s19
	v_mad_co_u64_u32 v[9:10], null, v7, s18, 0
	s_add_nc_u64 s[14:15], s[14:15], 1
	s_add_nc_u64 s[12:13], s[12:13], 8
	s_wait_alu 0xfffe
	v_cmp_ge_u64_e64 s2, s[14:15], s[6:7]
	s_add_nc_u64 s[16:17], s[16:17], 8
	s_delay_alu instid0(VALU_DEP_2) | instskip(NEXT) | instid1(VALU_DEP_3)
	v_add3_u32 v4, v10, v11, v4
	v_sub_co_u32 v5, vcc_lo, v5, v9
	s_wait_alu 0xfffd
	s_delay_alu instid0(VALU_DEP_2) | instskip(SKIP_3) | instid1(VALU_DEP_2)
	v_sub_co_ci_u32_e32 v4, vcc_lo, v6, v4, vcc_lo
	s_and_b32 vcc_lo, exec_lo, s2
	s_wait_kmcnt 0x0
	v_mul_lo_u32 v6, s21, v5
	v_mul_lo_u32 v4, s20, v4
	v_mad_co_u64_u32 v[1:2], null, s20, v5, v[1:2]
	s_delay_alu instid0(VALU_DEP_1)
	v_add3_u32 v2, v6, v2, v4
	s_wait_alu 0xfffe
	s_cbranch_vccnz .LBB0_9
; %bb.7:                                ;   in Loop: Header=BB0_2 Depth=1
	v_dual_mov_b32 v5, v7 :: v_dual_mov_b32 v6, v8
	s_branch .LBB0_2
.LBB0_8:
	v_dual_mov_b32 v8, v6 :: v_dual_mov_b32 v7, v5
.LBB0_9:
	s_lshl_b64 s[2:3], s[6:7], 3
	v_mul_hi_u32 v5, 0x4924925, v0
	s_wait_alu 0xfffe
	s_add_nc_u64 s[2:3], s[10:11], s[2:3]
	s_load_b64 s[2:3], s[2:3], 0x0
	s_load_b64 s[0:1], s[0:1], 0x20
	s_wait_kmcnt 0x0
	v_mul_lo_u32 v3, s2, v8
	v_mul_lo_u32 v4, s3, v7
	v_mad_co_u64_u32 v[1:2], null, s2, v7, v[1:2]
	v_cmp_gt_u64_e32 vcc_lo, s[0:1], v[7:8]
	s_delay_alu instid0(VALU_DEP_2) | instskip(SKIP_1) | instid1(VALU_DEP_2)
	v_add3_u32 v2, v4, v2, v3
	v_mul_u32_u24_e32 v3, 56, v5
	v_lshlrev_b64_e32 v[86:87], 4, v[1:2]
	s_delay_alu instid0(VALU_DEP_2)
	v_sub_nc_u32_e32 v84, v0, v3
	s_and_saveexec_b32 s1, vcc_lo
	s_cbranch_execz .LBB0_13
; %bb.10:
	v_mov_b32_e32 v85, 0
	s_delay_alu instid0(VALU_DEP_3) | instskip(SKIP_2) | instid1(VALU_DEP_3)
	v_add_co_u32 v0, s0, s8, v86
	s_wait_alu 0xf1ff
	v_add_co_ci_u32_e64 v1, s0, s9, v87, s0
	v_lshlrev_b64_e32 v[2:3], 4, v[84:85]
	v_lshl_add_u32 v62, v84, 4, 0
	s_mov_b32 s2, exec_lo
	s_delay_alu instid0(VALU_DEP_2) | instskip(SKIP_1) | instid1(VALU_DEP_3)
	v_add_co_u32 v58, s0, v0, v2
	s_wait_alu 0xf1ff
	v_add_co_ci_u32_e64 v59, s0, v1, v3, s0
	s_clause 0xe
	global_load_b128 v[2:5], v[58:59], off
	global_load_b128 v[6:9], v[58:59], off offset:896
	global_load_b128 v[10:13], v[58:59], off offset:1792
	;; [unrolled: 1-line block ×14, first 2 shown]
	s_wait_loadcnt 0xe
	ds_store_b128 v62, v[2:5]
	s_wait_loadcnt 0xd
	ds_store_b128 v62, v[6:9] offset:896
	s_wait_loadcnt 0xc
	ds_store_b128 v62, v[10:13] offset:1792
	;; [unrolled: 2-line block ×14, first 2 shown]
	v_cmpx_eq_u32_e32 55, v84
	s_cbranch_execz .LBB0_12
; %bb.11:
	global_load_b128 v[0:3], v[0:1], off offset:13440
	v_mov_b32_e32 v84, 55
	s_wait_loadcnt 0x0
	ds_store_b128 v85, v[0:3] offset:13440
.LBB0_12:
	s_wait_alu 0xfffe
	s_or_b32 exec_lo, exec_lo, s2
.LBB0_13:
	s_wait_alu 0xfffe
	s_or_b32 exec_lo, exec_lo, s1
	v_lshlrev_b32_e32 v0, 4, v84
	global_wb scope:SCOPE_SE
	s_wait_dscnt 0x0
	s_barrier_signal -1
	s_barrier_wait -1
	global_inv scope:SCOPE_SE
	v_add_nc_u32_e32 v88, 0, v0
	v_sub_nc_u32_e32 v10, 0, v0
	s_mov_b32 s1, exec_lo
                                        ; implicit-def: $vgpr4_vgpr5
	ds_load_b64 v[6:7], v88
	ds_load_b64 v[8:9], v10 offset:13440
	s_wait_dscnt 0x0
	v_add_f64_e32 v[0:1], v[6:7], v[8:9]
	v_add_f64_e64 v[2:3], v[6:7], -v[8:9]
	v_cmpx_ne_u32_e32 0, v84
	s_wait_alu 0xfffe
	s_xor_b32 s1, exec_lo, s1
	s_cbranch_execz .LBB0_15
; %bb.14:
	v_mov_b32_e32 v85, 0
	v_add_f64_e32 v[13:14], v[6:7], v[8:9]
	v_add_f64_e64 v[15:16], v[6:7], -v[8:9]
	s_delay_alu instid0(VALU_DEP_3) | instskip(NEXT) | instid1(VALU_DEP_1)
	v_lshlrev_b64_e32 v[0:1], 4, v[84:85]
	v_add_co_u32 v0, s0, s4, v0
	s_wait_alu 0xf1ff
	s_delay_alu instid0(VALU_DEP_2)
	v_add_co_ci_u32_e64 v1, s0, s5, v1, s0
	global_load_b128 v[2:5], v[0:1], off offset:13408
	ds_load_b64 v[0:1], v10 offset:13448
	ds_load_b64 v[11:12], v88 offset:8
	s_wait_dscnt 0x0
	v_add_f64_e32 v[6:7], v[0:1], v[11:12]
	v_add_f64_e64 v[0:1], v[11:12], -v[0:1]
	s_wait_loadcnt 0x0
	v_fma_f64 v[8:9], v[15:16], v[4:5], v[13:14]
	v_fma_f64 v[11:12], -v[15:16], v[4:5], v[13:14]
	s_delay_alu instid0(VALU_DEP_3) | instskip(SKIP_1) | instid1(VALU_DEP_4)
	v_fma_f64 v[13:14], v[6:7], v[4:5], -v[0:1]
	v_fma_f64 v[4:5], v[6:7], v[4:5], v[0:1]
	v_fma_f64 v[0:1], -v[6:7], v[2:3], v[8:9]
	s_delay_alu instid0(VALU_DEP_4) | instskip(NEXT) | instid1(VALU_DEP_4)
	v_fma_f64 v[6:7], v[6:7], v[2:3], v[11:12]
	v_fma_f64 v[8:9], v[15:16], v[2:3], v[13:14]
	s_delay_alu instid0(VALU_DEP_4)
	v_fma_f64 v[2:3], v[15:16], v[2:3], v[4:5]
	v_dual_mov_b32 v4, v84 :: v_dual_mov_b32 v5, v85
	ds_store_b128 v10, v[6:9] offset:13440
.LBB0_15:
	s_wait_alu 0xfffe
	s_and_not1_saveexec_b32 s0, s1
	s_cbranch_execz .LBB0_17
; %bb.16:
	v_mov_b32_e32 v8, 0
	ds_load_b128 v[4:7], v8 offset:6720
	s_wait_dscnt 0x0
	v_add_f64_e32 v[11:12], v[4:5], v[4:5]
	v_mul_f64_e32 v[13:14], -2.0, v[6:7]
	v_mov_b32_e32 v4, 0
	v_mov_b32_e32 v5, 0
	ds_store_b128 v8, v[11:14] offset:6720
.LBB0_17:
	s_wait_alu 0xfffe
	s_or_b32 exec_lo, exec_lo, s0
	v_lshlrev_b64_e32 v[4:5], 4, v[4:5]
	s_add_nc_u64 s[0:1], s[4:5], 0x3460
	s_wait_alu 0xfffe
	s_delay_alu instid0(VALU_DEP_1) | instskip(SKIP_1) | instid1(VALU_DEP_2)
	v_add_co_u32 v4, s0, s0, v4
	s_wait_alu 0xf1ff
	v_add_co_ci_u32_e64 v5, s0, s1, v5, s0
	v_cmp_gt_u32_e64 s0, 28, v84
	s_clause 0x1
	global_load_b128 v[6:9], v[4:5], off offset:896
	global_load_b128 v[11:14], v[4:5], off offset:1792
	ds_store_b128 v88, v[0:3]
	ds_load_b128 v[0:3], v88 offset:896
	ds_load_b128 v[15:18], v10 offset:12544
	global_load_b128 v[19:22], v[4:5], off offset:2688
	s_wait_dscnt 0x0
	v_add_f64_e32 v[23:24], v[0:1], v[15:16]
	v_add_f64_e32 v[25:26], v[17:18], v[2:3]
	v_add_f64_e64 v[27:28], v[0:1], -v[15:16]
	v_add_f64_e64 v[0:1], v[2:3], -v[17:18]
	s_wait_loadcnt 0x2
	s_delay_alu instid0(VALU_DEP_2) | instskip(NEXT) | instid1(VALU_DEP_2)
	v_fma_f64 v[2:3], v[27:28], v[8:9], v[23:24]
	v_fma_f64 v[15:16], v[25:26], v[8:9], v[0:1]
	v_fma_f64 v[17:18], -v[27:28], v[8:9], v[23:24]
	v_fma_f64 v[8:9], v[25:26], v[8:9], -v[0:1]
	s_delay_alu instid0(VALU_DEP_4) | instskip(NEXT) | instid1(VALU_DEP_4)
	v_fma_f64 v[0:1], -v[25:26], v[6:7], v[2:3]
	v_fma_f64 v[2:3], v[27:28], v[6:7], v[15:16]
	s_delay_alu instid0(VALU_DEP_4) | instskip(NEXT) | instid1(VALU_DEP_4)
	v_fma_f64 v[15:16], v[25:26], v[6:7], v[17:18]
	v_fma_f64 v[17:18], v[27:28], v[6:7], v[8:9]
	ds_store_b128 v88, v[0:3] offset:896
	ds_store_b128 v10, v[15:18] offset:12544
	ds_load_b128 v[0:3], v88 offset:1792
	ds_load_b128 v[6:9], v10 offset:11648
	global_load_b128 v[15:18], v[4:5], off offset:3584
	s_wait_dscnt 0x0
	v_add_f64_e32 v[23:24], v[0:1], v[6:7]
	v_add_f64_e32 v[25:26], v[8:9], v[2:3]
	v_add_f64_e64 v[27:28], v[0:1], -v[6:7]
	v_add_f64_e64 v[0:1], v[2:3], -v[8:9]
	s_wait_loadcnt 0x2
	s_delay_alu instid0(VALU_DEP_2) | instskip(NEXT) | instid1(VALU_DEP_2)
	v_fma_f64 v[2:3], v[27:28], v[13:14], v[23:24]
	v_fma_f64 v[6:7], v[25:26], v[13:14], v[0:1]
	v_fma_f64 v[8:9], -v[27:28], v[13:14], v[23:24]
	v_fma_f64 v[13:14], v[25:26], v[13:14], -v[0:1]
	s_delay_alu instid0(VALU_DEP_4) | instskip(NEXT) | instid1(VALU_DEP_4)
	v_fma_f64 v[0:1], -v[25:26], v[11:12], v[2:3]
	v_fma_f64 v[2:3], v[27:28], v[11:12], v[6:7]
	s_delay_alu instid0(VALU_DEP_4) | instskip(NEXT) | instid1(VALU_DEP_4)
	v_fma_f64 v[6:7], v[25:26], v[11:12], v[8:9]
	v_fma_f64 v[8:9], v[27:28], v[11:12], v[13:14]
	ds_store_b128 v88, v[0:3] offset:1792
	ds_store_b128 v10, v[6:9] offset:11648
	;; [unrolled: 22-line block ×4, first 2 shown]
	ds_load_b128 v[0:3], v88 offset:4480
	ds_load_b128 v[6:9], v10 offset:8960
	s_wait_dscnt 0x0
	v_add_f64_e32 v[15:16], v[0:1], v[6:7]
	v_add_f64_e32 v[17:18], v[8:9], v[2:3]
	v_add_f64_e64 v[23:24], v[0:1], -v[6:7]
	v_add_f64_e64 v[0:1], v[2:3], -v[8:9]
	s_wait_loadcnt 0x1
	s_delay_alu instid0(VALU_DEP_2) | instskip(NEXT) | instid1(VALU_DEP_2)
	v_fma_f64 v[2:3], v[23:24], v[13:14], v[15:16]
	v_fma_f64 v[6:7], v[17:18], v[13:14], v[0:1]
	v_fma_f64 v[8:9], -v[23:24], v[13:14], v[15:16]
	v_fma_f64 v[13:14], v[17:18], v[13:14], -v[0:1]
	s_delay_alu instid0(VALU_DEP_4) | instskip(NEXT) | instid1(VALU_DEP_4)
	v_fma_f64 v[0:1], -v[17:18], v[11:12], v[2:3]
	v_fma_f64 v[2:3], v[23:24], v[11:12], v[6:7]
	s_delay_alu instid0(VALU_DEP_4) | instskip(NEXT) | instid1(VALU_DEP_4)
	v_fma_f64 v[6:7], v[17:18], v[11:12], v[8:9]
	v_fma_f64 v[8:9], v[23:24], v[11:12], v[13:14]
	ds_store_b128 v88, v[0:3] offset:4480
	ds_store_b128 v10, v[6:9] offset:8960
	ds_load_b128 v[0:3], v88 offset:5376
	ds_load_b128 v[6:9], v10 offset:8064
	s_wait_dscnt 0x0
	v_add_f64_e32 v[11:12], v[0:1], v[6:7]
	v_add_f64_e32 v[13:14], v[8:9], v[2:3]
	v_add_f64_e64 v[15:16], v[0:1], -v[6:7]
	v_add_f64_e64 v[0:1], v[2:3], -v[8:9]
	s_wait_loadcnt 0x0
	s_delay_alu instid0(VALU_DEP_2) | instskip(NEXT) | instid1(VALU_DEP_2)
	v_fma_f64 v[2:3], v[15:16], v[21:22], v[11:12]
	v_fma_f64 v[6:7], v[13:14], v[21:22], v[0:1]
	v_fma_f64 v[8:9], -v[15:16], v[21:22], v[11:12]
	v_fma_f64 v[11:12], v[13:14], v[21:22], -v[0:1]
	s_delay_alu instid0(VALU_DEP_4) | instskip(NEXT) | instid1(VALU_DEP_4)
	v_fma_f64 v[0:1], -v[13:14], v[19:20], v[2:3]
	v_fma_f64 v[2:3], v[15:16], v[19:20], v[6:7]
	s_delay_alu instid0(VALU_DEP_4) | instskip(NEXT) | instid1(VALU_DEP_4)
	v_fma_f64 v[6:7], v[13:14], v[19:20], v[8:9]
	v_fma_f64 v[8:9], v[15:16], v[19:20], v[11:12]
	ds_store_b128 v88, v[0:3] offset:5376
	ds_store_b128 v10, v[6:9] offset:8064
	s_and_saveexec_b32 s1, s0
	s_cbranch_execz .LBB0_19
; %bb.18:
	global_load_b128 v[0:3], v[4:5], off offset:6272
	ds_load_b128 v[4:7], v88 offset:6272
	ds_load_b128 v[11:14], v10 offset:7168
	s_wait_dscnt 0x0
	v_add_f64_e32 v[8:9], v[4:5], v[11:12]
	v_add_f64_e32 v[15:16], v[13:14], v[6:7]
	v_add_f64_e64 v[11:12], v[4:5], -v[11:12]
	v_add_f64_e64 v[4:5], v[6:7], -v[13:14]
	s_wait_loadcnt 0x0
	s_delay_alu instid0(VALU_DEP_2) | instskip(NEXT) | instid1(VALU_DEP_2)
	v_fma_f64 v[6:7], v[11:12], v[2:3], v[8:9]
	v_fma_f64 v[13:14], v[15:16], v[2:3], v[4:5]
	v_fma_f64 v[8:9], -v[11:12], v[2:3], v[8:9]
	v_fma_f64 v[17:18], v[15:16], v[2:3], -v[4:5]
	s_delay_alu instid0(VALU_DEP_4) | instskip(NEXT) | instid1(VALU_DEP_4)
	v_fma_f64 v[2:3], -v[15:16], v[0:1], v[6:7]
	v_fma_f64 v[4:5], v[11:12], v[0:1], v[13:14]
	s_delay_alu instid0(VALU_DEP_4) | instskip(NEXT) | instid1(VALU_DEP_4)
	v_fma_f64 v[6:7], v[15:16], v[0:1], v[8:9]
	v_fma_f64 v[8:9], v[11:12], v[0:1], v[17:18]
	ds_store_b128 v88, v[2:5] offset:6272
	ds_store_b128 v10, v[6:9] offset:7168
.LBB0_19:
	s_wait_alu 0xfffe
	s_or_b32 exec_lo, exec_lo, s1
	global_wb scope:SCOPE_SE
	s_wait_dscnt 0x0
	s_barrier_signal -1
	s_barrier_wait -1
	global_inv scope:SCOPE_SE
	global_wb scope:SCOPE_SE
	s_barrier_signal -1
	s_barrier_wait -1
	global_inv scope:SCOPE_SE
	ds_load_b128 v[0:3], v88 offset:6720
	ds_load_b128 v[8:11], v88
	ds_load_b128 v[12:15], v88 offset:896
	ds_load_b128 v[4:7], v88 offset:7616
	;; [unrolled: 1-line block ×14, first 2 shown]
	v_add_nc_u32_e32 v74, 56, v84
	v_add_nc_u32_e32 v85, 0x70, v84
	;; [unrolled: 1-line block ×5, first 2 shown]
	s_wait_dscnt 0xe
	v_add_f64_e64 v[65:66], v[8:9], -v[0:1]
	v_add_f64_e64 v[67:68], v[10:11], -v[2:3]
	s_wait_dscnt 0xc
	v_add_f64_e64 v[77:78], v[12:13], -v[4:5]
	v_add_f64_e64 v[79:80], v[14:15], -v[6:7]
	;; [unrolled: 3-line block ×8, first 2 shown]
	v_add_nc_u32_e32 v72, 0x150, v84
	v_add_nc_u32_e32 v71, 0x188, v84
	global_wb scope:SCOPE_SE
	s_barrier_signal -1
	s_barrier_wait -1
	global_inv scope:SCOPE_SE
	v_lshl_add_u32 v60, v76, 5, 0
	v_lshl_add_u32 v61, v64, 5, 0
	;; [unrolled: 1-line block ×3, first 2 shown]
	v_fma_f64 v[8:9], v[8:9], 2.0, -v[65:66]
	v_fma_f64 v[10:11], v[10:11], 2.0, -v[67:68]
	;; [unrolled: 1-line block ×16, first 2 shown]
	v_lshl_add_u32 v56, v84, 5, 0
	v_lshl_add_u32 v57, v74, 5, 0
	;; [unrolled: 1-line block ×4, first 2 shown]
	ds_store_b128 v56, v[8:11]
	ds_store_b128 v56, v[65:68] offset:16
	ds_store_b128 v57, v[12:15]
	ds_store_b128 v57, v[77:80] offset:16
	;; [unrolled: 2-line block ×7, first 2 shown]
	s_and_saveexec_b32 s1, s0
	s_cbranch_execz .LBB0_21
; %bb.20:
	v_lshl_add_u32 v8, v71, 5, 0
	ds_store_b128 v8, v[0:3]
	ds_store_b128 v8, v[4:7] offset:16
.LBB0_21:
	s_wait_alu 0xfffe
	s_or_b32 exec_lo, exec_lo, s1
	global_wb scope:SCOPE_SE
	s_wait_dscnt 0x0
	s_barrier_signal -1
	s_barrier_wait -1
	global_inv scope:SCOPE_SE
	ds_load_b128 v[12:15], v88
	ds_load_b128 v[16:19], v88 offset:896
	ds_load_b128 v[8:11], v88 offset:7616
	;; [unrolled: 1-line block ×13, first 2 shown]
	v_lshlrev_b32_e32 v70, 1, v84
	v_lshlrev_b32_e32 v69, 1, v74
	;; [unrolled: 1-line block ×7, first 2 shown]
	s_and_saveexec_b32 s1, s0
	s_cbranch_execz .LBB0_23
; %bb.22:
	ds_load_b128 v[0:3], v88 offset:6272
	ds_load_b128 v[4:7], v88 offset:12992
.LBB0_23:
	s_wait_alu 0xfffe
	s_or_b32 exec_lo, exec_lo, s1
	v_and_b32_e32 v72, 1, v84
	v_lshlrev_b32_e32 v71, 1, v71
	s_delay_alu instid0(VALU_DEP_2)
	v_lshlrev_b32_e32 v73, 4, v72
	global_load_b128 v[77:80], v73, s[4:5]
	v_and_or_b32 v73, 0x3fc, v66, v72
	global_wb scope:SCOPE_SE
	s_wait_loadcnt_dscnt 0x0
	s_barrier_signal -1
	s_barrier_wait -1
	global_inv scope:SCOPE_SE
	v_lshl_add_u32 v73, v73, 4, 0
	v_mul_f64_e32 v[81:82], v[62:63], v[79:80]
	v_mul_f64_e32 v[89:90], v[60:61], v[79:80]
	;; [unrolled: 1-line block ×16, first 2 shown]
	v_fma_f64 v[60:61], v[60:61], v[77:78], -v[81:82]
	v_fma_f64 v[62:63], v[62:63], v[77:78], v[89:90]
	v_fma_f64 v[8:9], v[8:9], v[77:78], -v[91:92]
	v_fma_f64 v[10:11], v[10:11], v[77:78], v[93:94]
	;; [unrolled: 2-line block ×8, first 2 shown]
	v_add_f64_e64 v[40:41], v[12:13], -v[60:61]
	v_add_f64_e64 v[42:43], v[14:15], -v[62:63]
	;; [unrolled: 1-line block ×16, first 2 shown]
	v_and_or_b32 v81, 0x2fc, v65, v72
	v_and_or_b32 v82, 0x3fc, v64, v72
	s_delay_alu instid0(VALU_DEP_2) | instskip(NEXT) | instid1(VALU_DEP_2)
	v_lshl_add_u32 v81, v81, 4, 0
	v_lshl_add_u32 v82, v82, 4, 0
	v_fma_f64 v[12:13], v[12:13], 2.0, -v[40:41]
	v_fma_f64 v[14:15], v[14:15], 2.0, -v[42:43]
	;; [unrolled: 1-line block ×16, first 2 shown]
	v_and_or_b32 v0, 0x7c, v70, v72
	v_and_or_b32 v1, 0xfc, v69, v72
	;; [unrolled: 1-line block ×4, first 2 shown]
	s_delay_alu instid0(VALU_DEP_4) | instskip(NEXT) | instid1(VALU_DEP_4)
	v_lshl_add_u32 v0, v0, 4, 0
	v_lshl_add_u32 v1, v1, 4, 0
	s_delay_alu instid0(VALU_DEP_4) | instskip(NEXT) | instid1(VALU_DEP_4)
	v_lshl_add_u32 v2, v2, 4, 0
	v_lshl_add_u32 v3, v3, 4, 0
	ds_store_b128 v0, v[12:15]
	ds_store_b128 v0, v[40:43] offset:32
	ds_store_b128 v1, v[16:19]
	ds_store_b128 v1, v[44:47] offset:32
	;; [unrolled: 2-line block ×7, first 2 shown]
	s_and_saveexec_b32 s1, s0
	s_cbranch_execz .LBB0_25
; %bb.24:
	v_and_or_b32 v0, 0x37c, v71, v72
	s_delay_alu instid0(VALU_DEP_1)
	v_lshl_add_u32 v0, v0, 4, 0
	ds_store_b128 v0, v[4:7]
	ds_store_b128 v0, v[8:11] offset:32
.LBB0_25:
	s_wait_alu 0xfffe
	s_or_b32 exec_lo, exec_lo, s1
	global_wb scope:SCOPE_SE
	s_wait_dscnt 0x0
	s_barrier_signal -1
	s_barrier_wait -1
	global_inv scope:SCOPE_SE
	ds_load_b128 v[12:15], v88
	ds_load_b128 v[16:19], v88 offset:896
	ds_load_b128 v[36:39], v88 offset:7616
	;; [unrolled: 1-line block ×13, first 2 shown]
	s_and_saveexec_b32 s1, s0
	s_cbranch_execz .LBB0_27
; %bb.26:
	ds_load_b128 v[4:7], v88 offset:6272
	ds_load_b128 v[8:11], v88 offset:12992
.LBB0_27:
	s_wait_alu 0xfffe
	s_or_b32 exec_lo, exec_lo, s1
	v_and_b32_e32 v72, 3, v84
	s_delay_alu instid0(VALU_DEP_1)
	v_lshlrev_b32_e32 v73, 4, v72
	v_and_or_b32 v70, 0x78, v70, v72
	v_and_or_b32 v69, 0xf8, v69, v72
	;; [unrolled: 1-line block ×4, first 2 shown]
	global_load_b128 v[77:80], v73, s[4:5] offset:32
	v_and_or_b32 v66, 0x3f8, v66, v72
	v_and_or_b32 v65, 0x2f8, v65, v72
	;; [unrolled: 1-line block ×3, first 2 shown]
	v_lshl_add_u32 v70, v70, 4, 0
	v_lshl_add_u32 v69, v69, 4, 0
	v_lshl_add_u32 v68, v68, 4, 0
	global_wb scope:SCOPE_SE
	s_wait_loadcnt_dscnt 0x0
	s_barrier_signal -1
	s_barrier_wait -1
	global_inv scope:SCOPE_SE
	v_lshl_add_u32 v67, v67, 4, 0
	v_lshl_add_u32 v66, v66, 4, 0
	v_lshl_add_u32 v65, v65, 4, 0
	v_lshl_add_u32 v64, v64, 4, 0
	v_mul_f64_e32 v[81:82], v[62:63], v[79:80]
	v_mul_f64_e32 v[89:90], v[60:61], v[79:80]
	;; [unrolled: 1-line block ×14, first 2 shown]
	v_fma_f64 v[60:61], v[60:61], v[77:78], -v[81:82]
	v_fma_f64 v[62:63], v[62:63], v[77:78], v[89:90]
	v_fma_f64 v[81:82], v[36:37], v[77:78], -v[91:92]
	v_fma_f64 v[89:90], v[38:39], v[77:78], v[93:94]
	;; [unrolled: 2-line block ×5, first 2 shown]
	v_fma_f64 v[56:57], v[56:57], v[77:78], -v[107:108]
	v_fma_f64 v[103:104], v[52:53], v[77:78], -v[111:112]
	v_fma_f64 v[105:106], v[54:55], v[77:78], v[113:114]
	v_mul_f64_e32 v[107:108], v[10:11], v[79:80]
	v_mul_f64_e32 v[79:80], v[8:9], v[79:80]
	v_fma_f64 v[58:59], v[58:59], v[77:78], v[109:110]
	v_add_f64_e64 v[36:37], v[12:13], -v[60:61]
	v_add_f64_e64 v[38:39], v[14:15], -v[62:63]
	;; [unrolled: 1-line block ×13, first 2 shown]
	v_fma_f64 v[81:82], v[8:9], v[77:78], -v[107:108]
	v_fma_f64 v[77:78], v[10:11], v[77:78], v[79:80]
	v_add_f64_e64 v[58:59], v[30:31], -v[58:59]
	v_fma_f64 v[8:9], v[12:13], 2.0, -v[36:37]
	v_fma_f64 v[10:11], v[14:15], 2.0, -v[38:39]
	;; [unrolled: 1-line block ×13, first 2 shown]
	v_add_f64_e64 v[0:1], v[4:5], -v[81:82]
	v_add_f64_e64 v[2:3], v[6:7], -v[77:78]
	v_fma_f64 v[30:31], v[30:31], 2.0, -v[58:59]
	ds_store_b128 v70, v[8:11]
	ds_store_b128 v70, v[36:39] offset:64
	ds_store_b128 v69, v[12:15]
	ds_store_b128 v69, v[40:43] offset:64
	;; [unrolled: 2-line block ×7, first 2 shown]
	s_and_saveexec_b32 s1, s0
	s_cbranch_execz .LBB0_29
; %bb.28:
	v_fma_f64 v[6:7], v[6:7], 2.0, -v[2:3]
	v_fma_f64 v[4:5], v[4:5], 2.0, -v[0:1]
	v_and_or_b32 v8, 0x378, v71, v72
	s_delay_alu instid0(VALU_DEP_1)
	v_lshl_add_u32 v8, v8, 4, 0
	ds_store_b128 v8, v[4:7]
	ds_store_b128 v8, v[0:3] offset:64
.LBB0_29:
	s_wait_alu 0xfffe
	s_or_b32 exec_lo, exec_lo, s1
	v_and_b32_e32 v77, 7, v84
	global_wb scope:SCOPE_SE
	s_wait_dscnt 0x0
	s_barrier_signal -1
	s_barrier_wait -1
	global_inv scope:SCOPE_SE
	v_lshlrev_b32_e32 v4, 5, v77
	v_lshrrev_b32_e32 v119, 3, v75
	v_lshrrev_b32_e32 v120, 3, v76
	s_mov_b32 s0, 0xe8584caa
	s_mov_b32 s1, 0x3febb67a
	s_clause 0x1
	global_load_b128 v[8:11], v4, s[4:5] offset:96
	global_load_b128 v[12:15], v4, s[4:5] offset:112
	ds_load_b128 v[16:19], v88 offset:4480
	ds_load_b128 v[20:23], v88 offset:8960
	;; [unrolled: 1-line block ×11, first 2 shown]
	s_mov_b32 s3, 0xbfebb67a
	s_wait_alu 0xfffe
	s_mov_b32 s2, s0
	v_lshrrev_b32_e32 v117, 3, v74
	v_lshrrev_b32_e32 v118, 3, v85
	v_and_b32_e32 v121, 0xff, v74
	v_and_b32_e32 v122, 0xff, v85
	s_mov_b32 s6, 0x134454ff
	s_mov_b32 s7, 0x3fee6f0e
	;; [unrolled: 1-line block ×3, first 2 shown]
	s_wait_alu 0xfffe
	s_mov_b32 s10, s6
	s_wait_loadcnt_dscnt 0x10a
	v_mul_f64_e32 v[24:25], v[18:19], v[10:11]
	s_wait_loadcnt_dscnt 0x9
	v_mul_f64_e32 v[26:27], v[22:23], v[14:15]
	v_mul_f64_e32 v[46:47], v[16:17], v[10:11]
	v_mul_f64_e32 v[48:49], v[20:21], v[14:15]
	s_wait_dscnt 0x8
	v_mul_f64_e32 v[54:55], v[30:31], v[10:11]
	s_wait_dscnt 0x7
	v_mul_f64_e32 v[56:57], v[34:35], v[14:15]
	v_mul_f64_e32 v[72:73], v[28:29], v[10:11]
	v_mul_f64_e32 v[78:79], v[32:33], v[14:15]
	s_wait_dscnt 0x6
	v_mul_f64_e32 v[80:81], v[38:39], v[10:11]
	s_wait_dscnt 0x5
	;; [unrolled: 6-line block ×4, first 2 shown]
	v_mul_f64_e32 v[103:104], v[70:71], v[14:15]
	v_mul_f64_e32 v[10:11], v[64:65], v[10:11]
	;; [unrolled: 1-line block ×3, first 2 shown]
	v_fma_f64 v[44:45], v[16:17], v[8:9], -v[24:25]
	v_fma_f64 v[24:25], v[20:21], v[12:13], -v[26:27]
	v_fma_f64 v[62:63], v[18:19], v[8:9], v[46:47]
	v_fma_f64 v[26:27], v[22:23], v[12:13], v[48:49]
	v_fma_f64 v[46:47], v[28:29], v[8:9], -v[54:55]
	v_fma_f64 v[28:29], v[32:33], v[12:13], -v[56:57]
	v_fma_f64 v[54:55], v[30:31], v[8:9], v[72:73]
	v_fma_f64 v[30:31], v[34:35], v[12:13], v[78:79]
	;; [unrolled: 4-line block ×5, first 2 shown]
	ds_load_b128 v[8:11], v88
	ds_load_b128 v[12:15], v88 offset:896
	ds_load_b128 v[20:23], v88 offset:1792
	;; [unrolled: 1-line block ×3, first 2 shown]
	v_lshrrev_b32_e32 v93, 3, v84
	v_and_b32_e32 v94, 0xff, v84
	global_wb scope:SCOPE_SE
	s_wait_dscnt 0x0
	s_barrier_signal -1
	s_barrier_wait -1
	v_mul_u32_u24_e32 v123, 24, v93
	v_mul_lo_u16 v124, 0xab, v94
	global_inv scope:SCOPE_SE
	v_add_f64_e32 v[75:76], v[8:9], v[44:45]
	v_add_f64_e32 v[64:65], v[44:45], v[24:25]
	;; [unrolled: 1-line block ×3, first 2 shown]
	v_add_f64_e64 v[93:94], v[62:63], -v[26:27]
	v_add_f64_e32 v[66:67], v[46:47], v[28:29]
	v_add_f64_e32 v[62:63], v[10:11], v[62:63]
	;; [unrolled: 1-line block ×9, first 2 shown]
	v_add_f64_e64 v[44:45], v[44:45], -v[24:25]
	v_add_f64_e32 v[82:83], v[58:59], v[38:39]
	v_add_f64_e32 v[101:102], v[22:23], v[56:57]
	;; [unrolled: 1-line block ×7, first 2 shown]
	v_add_f64_e64 v[54:55], v[54:55], -v[30:31]
	v_add_f64_e64 v[46:47], v[46:47], -v[28:29]
	v_add_f64_e32 v[109:110], v[6:7], v[60:61]
	v_add_f64_e64 v[56:57], v[56:57], -v[34:35]
	v_add_f64_e64 v[58:59], v[58:59], -v[38:39]
	;; [unrolled: 1-line block ×5, first 2 shown]
	v_fma_f64 v[8:9], v[64:65], -0.5, v[8:9]
	v_fma_f64 v[64:65], v[68:69], -0.5, v[10:11]
	v_mul_u32_u24_e32 v10, 24, v117
	v_fma_f64 v[66:67], v[66:67], -0.5, v[12:13]
	v_mul_u32_u24_e32 v12, 24, v118
	v_fma_f64 v[68:69], v[72:73], -0.5, v[14:15]
	v_add_f64_e64 v[72:73], v[48:49], -v[32:33]
	v_fma_f64 v[70:71], v[70:71], -0.5, v[20:21]
	v_add_f64_e32 v[13:14], v[95:96], v[28:29]
	v_fma_f64 v[78:79], v[78:79], -0.5, v[22:23]
	v_mul_u32_u24_e32 v117, 24, v119
	v_fma_f64 v[80:81], v[80:81], -0.5, v[16:17]
	v_add_f64_e32 v[15:16], v[97:98], v[30:31]
	v_fma_f64 v[82:83], v[82:83], -0.5, v[18:19]
	v_add_f64_e32 v[17:18], v[99:100], v[32:33]
	;; [unrolled: 2-line block ×4, first 2 shown]
	v_add_f64_e32 v[19:20], v[101:102], v[34:35]
	v_add_f64_e32 v[21:22], v[103:104], v[36:37]
	;; [unrolled: 1-line block ×5, first 2 shown]
	v_mul_lo_u16 v119, 0xab, v121
	v_lshrrev_b16 v11, 12, v124
	v_mul_u32_u24_e32 v118, 24, v120
	v_mul_lo_u16 v120, 0xab, v122
	v_or_b32_e32 v10, v10, v77
	s_delay_alu instid0(VALU_DEP_1)
	v_lshl_add_u32 v75, v10, 4, 0
	v_fma_f64 v[29:30], v[93:94], s[0:1], v[8:9]
	v_fma_f64 v[31:32], v[44:45], s[2:3], v[64:65]
	;; [unrolled: 1-line block ×20, first 2 shown]
	v_or_b32_e32 v9, v123, v77
	v_or_b32_e32 v69, v12, v77
	v_lshrrev_b16 v12, 12, v119
	v_mul_lo_u16 v71, v11, 24
	v_lshrrev_b16 v8, 12, v120
	v_lshl_add_u32 v73, v9, 4, 0
	v_or_b32_e32 v72, v118, v77
	v_mul_lo_u16 v9, v12, 24
	v_sub_nc_u16 v71, v84, v71
	v_mul_lo_u16 v10, v8, 24
	v_or_b32_e32 v70, v117, v77
	v_lshl_add_u32 v69, v69, 4, 0
	v_sub_nc_u16 v74, v74, v9
	v_and_b32_e32 v9, 0xff, v71
	v_lshl_add_u32 v71, v72, 4, 0
	v_sub_nc_u16 v72, v85, v10
	v_lshl_add_u32 v70, v70, 4, 0
	v_and_b32_e32 v10, 0xff, v74
	v_lshlrev_b32_e32 v74, 6, v9
	ds_store_b128 v73, v[4:7]
	ds_store_b128 v73, v[29:32] offset:128
	ds_store_b128 v73, v[33:36] offset:256
	ds_store_b128 v75, v[13:16]
	ds_store_b128 v75, v[37:40] offset:128
	ds_store_b128 v75, v[41:44] offset:256
	;; [unrolled: 3-line block ×5, first 2 shown]
	v_lshlrev_b32_e32 v38, 6, v10
	global_wb scope:SCOPE_SE
	s_wait_dscnt 0x0
	s_barrier_signal -1
	s_barrier_wait -1
	global_inv scope:SCOPE_SE
	s_clause 0x2
	global_load_b128 v[4:7], v74, s[4:5] offset:352
	global_load_b128 v[14:17], v74, s[4:5] offset:368
	;; [unrolled: 1-line block ×3, first 2 shown]
	v_and_b32_e32 v13, 0xff, v72
	s_clause 0x2
	global_load_b128 v[22:25], v74, s[4:5] offset:400
	global_load_b128 v[26:29], v38, s[4:5] offset:352
	;; [unrolled: 1-line block ×3, first 2 shown]
	s_mov_b32 s0, 0x4755a5e
	s_mov_b32 s1, 0x3fe2cf23
	;; [unrolled: 1-line block ×3, first 2 shown]
	v_lshlrev_b32_e32 v54, 6, v13
	s_clause 0x5
	global_load_b128 v[34:37], v38, s[4:5] offset:384
	global_load_b128 v[38:41], v38, s[4:5] offset:400
	;; [unrolled: 1-line block ×6, first 2 shown]
	ds_load_b128 v[58:61], v88 offset:2688
	ds_load_b128 v[62:65], v88 offset:5376
	;; [unrolled: 1-line block ×13, first 2 shown]
	s_wait_alu 0xfffe
	s_mov_b32 s2, s0
	v_and_b32_e32 v11, 0xffff, v11
	v_and_b32_e32 v12, 0xffff, v12
	;; [unrolled: 1-line block ×3, first 2 shown]
	v_lshlrev_b32_e32 v9, 4, v9
	v_lshlrev_b32_e32 v10, 4, v10
	v_mul_u32_u24_e32 v11, 0x780, v11
	v_mul_u32_u24_e32 v12, 0x780, v12
	;; [unrolled: 1-line block ×3, first 2 shown]
	v_lshlrev_b32_e32 v13, 4, v13
	s_delay_alu instid0(VALU_DEP_4) | instskip(NEXT) | instid1(VALU_DEP_4)
	v_add3_u32 v9, 0, v11, v9
	v_add3_u32 v10, 0, v12, v10
	s_delay_alu instid0(VALU_DEP_3)
	v_add3_u32 v8, 0, v8, v13
	s_wait_loadcnt_dscnt 0xb0c
	v_mul_f64_e32 v[82:83], v[60:61], v[6:7]
	s_wait_loadcnt_dscnt 0xa0b
	v_mul_f64_e32 v[117:118], v[64:65], v[16:17]
	v_mul_f64_e32 v[16:17], v[62:63], v[16:17]
	s_wait_loadcnt_dscnt 0x90a
	v_mul_f64_e32 v[119:120], v[68:69], v[20:21]
	;; [unrolled: 3-line block ×3, first 2 shown]
	v_mul_f64_e32 v[6:7], v[58:59], v[6:7]
	v_mul_f64_e32 v[24:25], v[70:71], v[24:25]
	s_wait_loadcnt_dscnt 0x708
	v_mul_f64_e32 v[123:124], v[76:77], v[28:29]
	v_mul_f64_e32 v[28:29], v[74:75], v[28:29]
	s_wait_loadcnt_dscnt 0x607
	;; [unrolled: 3-line block ×6, first 2 shown]
	v_mul_f64_e32 v[133:134], v[107:108], v[48:49]
	s_wait_loadcnt_dscnt 0x101
	v_mul_f64_e32 v[135:136], v[111:112], v[52:53]
	v_mul_f64_e32 v[48:49], v[105:106], v[48:49]
	;; [unrolled: 1-line block ×3, first 2 shown]
	s_wait_loadcnt_dscnt 0x0
	v_mul_f64_e32 v[137:138], v[115:116], v[56:57]
	v_mul_f64_e32 v[56:57], v[113:114], v[56:57]
	v_fma_f64 v[58:59], v[58:59], v[4:5], -v[82:83]
	v_fma_f64 v[62:63], v[62:63], v[14:15], -v[117:118]
	v_fma_f64 v[64:65], v[64:65], v[14:15], v[16:17]
	v_fma_f64 v[66:67], v[66:67], v[18:19], -v[119:120]
	v_fma_f64 v[18:19], v[68:69], v[18:19], v[20:21]
	;; [unrolled: 2-line block ×3, first 2 shown]
	v_fma_f64 v[22:23], v[72:73], v[22:23], v[24:25]
	v_fma_f64 v[24:25], v[74:75], v[26:27], -v[123:124]
	v_fma_f64 v[26:27], v[76:77], v[26:27], v[28:29]
	v_fma_f64 v[28:29], v[78:79], v[30:31], -v[125:126]
	v_fma_f64 v[30:31], v[80:81], v[30:31], v[32:33]
	v_fma_f64 v[32:33], v[89:90], v[34:35], -v[127:128]
	v_fma_f64 v[34:35], v[91:92], v[34:35], v[36:37]
	v_fma_f64 v[36:37], v[93:94], v[38:39], -v[129:130]
	v_fma_f64 v[38:39], v[95:96], v[38:39], v[40:41]
	v_fma_f64 v[40:41], v[101:102], v[42:43], -v[131:132]
	v_fma_f64 v[42:43], v[103:104], v[42:43], v[44:45]
	v_fma_f64 v[44:45], v[105:106], v[46:47], -v[133:134]
	v_fma_f64 v[68:69], v[109:110], v[50:51], -v[135:136]
	v_fma_f64 v[46:47], v[107:108], v[46:47], v[48:49]
	v_fma_f64 v[48:49], v[111:112], v[50:51], v[52:53]
	v_fma_f64 v[70:71], v[113:114], v[54:55], -v[137:138]
	v_fma_f64 v[50:51], v[115:116], v[54:55], v[56:57]
	ds_load_b128 v[4:7], v88
	ds_load_b128 v[14:17], v88 offset:896
	global_wb scope:SCOPE_SE
	s_wait_dscnt 0x0
	s_barrier_signal -1
	s_barrier_wait -1
	global_inv scope:SCOPE_SE
	v_add_f64_e64 v[95:96], v[58:59], -v[62:63]
	v_add_f64_e64 v[103:104], v[62:63], -v[58:59]
	v_add_f64_e32 v[52:53], v[62:63], v[66:67]
	v_add_f64_e32 v[56:57], v[64:65], v[18:19]
	;; [unrolled: 1-line block ×6, first 2 shown]
	v_add_f64_e64 v[101:102], v[20:21], -v[66:67]
	v_add_f64_e64 v[105:106], v[66:67], -v[20:21]
	;; [unrolled: 1-line block ×3, first 2 shown]
	v_add_f64_e32 v[74:75], v[28:29], v[32:33]
	v_add_f64_e32 v[78:79], v[30:31], v[34:35]
	;; [unrolled: 1-line block ×4, first 2 shown]
	v_add_f64_e64 v[109:110], v[22:23], -v[18:19]
	v_add_f64_e64 v[115:116], v[64:65], -v[60:61]
	v_add_f64_e32 v[119:120], v[14:15], v[24:25]
	v_add_f64_e32 v[82:83], v[44:45], v[68:69]
	;; [unrolled: 1-line block ×7, first 2 shown]
	v_add_f64_e64 v[60:61], v[60:61], -v[22:23]
	v_add_f64_e32 v[127:128], v[97:98], v[40:41]
	v_add_f64_e64 v[147:148], v[62:63], -v[66:67]
	v_add_f64_e64 v[149:150], v[64:65], -v[18:19]
	;; [unrolled: 1-line block ×14, first 2 shown]
	v_fma_f64 v[52:53], v[52:53], -0.5, v[4:5]
	v_fma_f64 v[56:57], v[56:57], -0.5, v[6:7]
	;; [unrolled: 1-line block ×3, first 2 shown]
	v_add_f64_e64 v[54:55], v[58:59], -v[20:21]
	v_fma_f64 v[6:7], v[72:73], -0.5, v[6:7]
	v_add_f64_e64 v[58:59], v[30:31], -v[34:35]
	v_add_f64_e32 v[62:63], v[111:112], v[62:63]
	v_add_f64_e32 v[64:65], v[113:114], v[64:65]
	v_add_f64_e64 v[141:142], v[34:35], -v[38:39]
	v_fma_f64 v[72:73], v[74:75], -0.5, v[14:15]
	v_add_f64_e64 v[74:75], v[28:29], -v[32:33]
	v_fma_f64 v[14:15], v[76:77], -0.5, v[14:15]
	v_fma_f64 v[76:77], v[78:79], -0.5, v[16:17]
	;; [unrolled: 1-line block ×3, first 2 shown]
	v_add_f64_e64 v[78:79], v[42:43], -v[50:51]
	v_add_f64_e64 v[80:81], v[46:47], -v[48:49]
	v_fma_f64 v[82:83], v[82:83], -0.5, v[97:98]
	v_add_f64_e64 v[153:154], v[42:43], -v[46:47]
	v_fma_f64 v[91:92], v[91:92], -0.5, v[99:100]
	v_fma_f64 v[89:90], v[89:90], -0.5, v[97:98]
	v_add_f64_e64 v[97:98], v[44:45], -v[68:69]
	v_fma_f64 v[93:94], v[93:94], -0.5, v[99:100]
	v_add_f64_e64 v[99:100], v[68:69], -v[70:71]
	v_add_f64_e64 v[42:43], v[46:47], -v[42:43]
	;; [unrolled: 1-line block ×3, first 2 shown]
	v_add_f64_e32 v[95:96], v[95:96], v[101:102]
	v_add_f64_e32 v[101:102], v[103:104], v[105:106]
	;; [unrolled: 1-line block ×7, first 2 shown]
	v_add_f64_e64 v[137:138], v[38:39], -v[34:35]
	v_add_f64_e32 v[105:106], v[115:116], v[117:118]
	v_add_f64_e64 v[145:146], v[70:71], -v[68:69]
	v_add_f64_e64 v[155:156], v[50:51], -v[48:49]
	v_add_f64_e32 v[121:122], v[121:122], v[123:124]
	v_add_f64_e32 v[123:124], v[131:132], v[133:134]
	v_fma_f64 v[107:108], v[60:61], s[6:7], v[52:53]
	v_fma_f64 v[52:53], v[60:61], s[10:11], v[52:53]
	;; [unrolled: 1-line block ×8, first 2 shown]
	v_add_f64_e32 v[18:19], v[64:65], v[18:19]
	v_fma_f64 v[115:116], v[26:27], s[6:7], v[72:73]
	v_fma_f64 v[72:73], v[26:27], s[10:11], v[72:73]
	;; [unrolled: 1-line block ×16, first 2 shown]
	v_add_f64_e32 v[99:100], v[40:41], v[99:100]
	v_add_f64_e32 v[40:41], v[62:63], v[66:67]
	;; [unrolled: 1-line block ×11, first 2 shown]
	v_fma_f64 v[42:43], v[149:150], s[0:1], v[107:108]
	s_wait_alu 0xfffe
	v_fma_f64 v[44:45], v[149:150], s[2:3], v[52:53]
	v_fma_f64 v[46:47], v[60:61], s[0:1], v[109:110]
	;; [unrolled: 1-line block ×23, first 2 shown]
	s_mov_b32 s0, 0x372fe950
	s_mov_b32 s1, 0x3fd3c6ef
	v_add_f64_e32 v[14:15], v[40:41], v[20:21]
	v_add_f64_e32 v[16:17], v[18:19], v[22:23]
	;; [unrolled: 1-line block ×6, first 2 shown]
	s_wait_alu 0xfffe
	v_fma_f64 v[26:27], v[95:96], s[0:1], v[42:43]
	v_fma_f64 v[30:31], v[95:96], s[0:1], v[44:45]
	;; [unrolled: 1-line block ×24, first 2 shown]
	ds_store_b128 v9, v[14:17]
	ds_store_b128 v9, v[26:29] offset:384
	ds_store_b128 v9, v[34:37] offset:768
	ds_store_b128 v9, v[38:41] offset:1152
	ds_store_b128 v9, v[30:33] offset:1536
	ds_store_b128 v10, v[18:21]
	ds_store_b128 v10, v[42:45] offset:384
	ds_store_b128 v10, v[50:53] offset:768
	ds_store_b128 v10, v[54:57] offset:1152
	ds_store_b128 v10, v[46:49] offset:1536
	;; [unrolled: 5-line block ×3, first 2 shown]
	global_wb scope:SCOPE_SE
	s_wait_dscnt 0x0
	s_barrier_signal -1
	s_barrier_wait -1
	global_inv scope:SCOPE_SE
	ds_load_b128 v[32:35], v88
	ds_load_b128 v[28:31], v88 offset:896
	ds_load_b128 v[68:71], v88 offset:1920
	;; [unrolled: 1-line block ×13, first 2 shown]
	v_cmp_gt_u32_e64 s0, 8, v84
                                        ; implicit-def: $vgpr26_vgpr27
                                        ; implicit-def: $vgpr22_vgpr23
                                        ; implicit-def: $vgpr18_vgpr19
                                        ; implicit-def: $vgpr14_vgpr15
                                        ; implicit-def: $vgpr10_vgpr11
	s_delay_alu instid0(VALU_DEP_1)
	s_and_saveexec_b32 s1, s0
	s_cbranch_execz .LBB0_31
; %bb.30:
	ds_load_b128 v[4:7], v88 offset:1792
	ds_load_b128 v[0:3], v88 offset:3712
	;; [unrolled: 1-line block ×7, first 2 shown]
.LBB0_31:
	s_wait_alu 0xfffe
	s_or_b32 exec_lo, exec_lo, s1
	v_mul_u32_u24_e32 v89, 6, v84
	s_mov_b32 s10, 0x37e14327
	s_mov_b32 s14, 0xe976ee23
	;; [unrolled: 1-line block ×4, first 2 shown]
	v_lshlrev_b32_e32 v133, 4, v89
	s_mov_b32 s15, 0xbfe11646
	s_mov_b32 s7, 0x3fac98ee
	;; [unrolled: 1-line block ×4, first 2 shown]
	s_clause 0xb
	global_load_b128 v[89:92], v133, s[4:5] offset:1888
	global_load_b128 v[93:96], v133, s[4:5] offset:1904
	;; [unrolled: 1-line block ×12, first 2 shown]
	s_mov_b32 s12, 0xaaaaaaaa
	s_mov_b32 s20, 0xb247c609
	;; [unrolled: 1-line block ×9, first 2 shown]
	s_wait_alu 0xfffe
	s_mov_b32 s22, s20
	s_mov_b32 s24, 0x37c3f68c
	;; [unrolled: 1-line block ×3, first 2 shown]
	global_wb scope:SCOPE_SE
	s_wait_loadcnt_dscnt 0x0
	s_barrier_signal -1
	s_barrier_wait -1
	global_inv scope:SCOPE_SE
	v_mul_f64_e32 v[137:138], v[70:71], v[91:92]
	v_mul_f64_e32 v[91:92], v[68:69], v[91:92]
	;; [unrolled: 1-line block ×20, first 2 shown]
	v_fma_f64 v[68:69], v[68:69], v[89:90], -v[137:138]
	v_fma_f64 v[70:71], v[70:71], v[89:90], v[91:92]
	v_fma_f64 v[72:73], v[72:73], v[93:94], -v[139:140]
	v_fma_f64 v[74:75], v[74:75], v[93:94], v[95:96]
	;; [unrolled: 2-line block ×4, first 2 shown]
	v_mul_f64_e32 v[89:90], v[38:39], v[131:132]
	v_mul_f64_e32 v[91:92], v[36:37], v[131:132]
	;; [unrolled: 1-line block ×4, first 2 shown]
	v_fma_f64 v[52:53], v[52:53], v[105:106], -v[145:146]
	v_fma_f64 v[54:55], v[54:55], v[105:106], v[107:108]
	v_fma_f64 v[56:57], v[56:57], v[109:110], -v[147:148]
	v_fma_f64 v[58:59], v[58:59], v[109:110], v[111:112]
	;; [unrolled: 2-line block ×6, first 2 shown]
	v_add_f64_e32 v[97:98], v[68:69], v[80:81]
	v_add_f64_e32 v[99:100], v[70:71], v[82:83]
	;; [unrolled: 1-line block ×4, first 2 shown]
	v_fma_f64 v[36:37], v[36:37], v[129:130], -v[89:90]
	v_fma_f64 v[38:39], v[38:39], v[129:130], v[91:92]
	v_fma_f64 v[40:41], v[40:41], v[133:134], -v[93:94]
	v_fma_f64 v[42:43], v[42:43], v[133:134], v[95:96]
	v_add_f64_e64 v[72:73], v[72:73], -v[76:77]
	v_add_f64_e64 v[74:75], v[74:75], -v[78:79]
	v_add_f64_e32 v[89:90], v[52:53], v[64:65]
	v_add_f64_e32 v[91:92], v[54:55], v[66:67]
	;; [unrolled: 1-line block ×4, first 2 shown]
	v_add_f64_e64 v[56:57], v[56:57], -v[60:61]
	v_add_f64_e64 v[58:59], v[58:59], -v[62:63]
	v_add_f64_e32 v[105:106], v[44:45], v[48:49]
	v_add_f64_e32 v[107:108], v[46:47], v[50:51]
	v_add_f64_e64 v[44:45], v[48:49], -v[44:45]
	v_add_f64_e64 v[46:47], v[50:51], -v[46:47]
	;; [unrolled: 1-line block ×4, first 2 shown]
	v_add_f64_e32 v[68:69], v[101:102], v[97:98]
	v_add_f64_e32 v[70:71], v[103:104], v[99:100]
	;; [unrolled: 1-line block ×4, first 2 shown]
	v_add_f64_e64 v[36:37], v[40:41], -v[36:37]
	v_add_f64_e64 v[38:39], v[42:43], -v[38:39]
	v_add_f64_e64 v[40:41], v[52:53], -v[64:65]
	v_add_f64_e64 v[42:43], v[54:55], -v[66:67]
	v_add_f64_e32 v[52:53], v[93:94], v[89:90]
	v_add_f64_e32 v[54:55], v[95:96], v[91:92]
	v_add_f64_e64 v[64:65], v[97:98], -v[105:106]
	v_add_f64_e64 v[66:67], v[99:100], -v[107:108]
	;; [unrolled: 1-line block ×8, first 2 shown]
	v_add_f64_e32 v[72:73], v[44:45], v[72:73]
	v_add_f64_e32 v[74:75], v[46:47], v[74:75]
	v_add_f64_e64 v[44:45], v[48:49], -v[44:45]
	v_add_f64_e64 v[46:47], v[50:51], -v[46:47]
	;; [unrolled: 1-line block ×4, first 2 shown]
	v_add_f64_e32 v[68:69], v[105:106], v[68:69]
	v_add_f64_e32 v[70:71], v[107:108], v[70:71]
	v_add_f64_e64 v[105:106], v[89:90], -v[60:61]
	v_add_f64_e64 v[107:108], v[91:92], -v[62:63]
	;; [unrolled: 1-line block ×6, first 2 shown]
	v_add_f64_e32 v[56:57], v[36:37], v[56:57]
	v_add_f64_e32 v[58:59], v[38:39], v[58:59]
	;; [unrolled: 1-line block ×4, first 2 shown]
	v_add_f64_e64 v[60:61], v[60:61], -v[93:94]
	v_add_f64_e64 v[62:63], v[62:63], -v[95:96]
	v_mul_f64_e32 v[64:65], s[10:11], v[64:65]
	v_mul_f64_e32 v[66:67], s[10:11], v[66:67]
	;; [unrolled: 1-line block ×6, first 2 shown]
	v_add_f64_e64 v[36:37], v[40:41], -v[36:37]
	v_add_f64_e64 v[38:39], v[42:43], -v[38:39]
	v_mul_f64_e32 v[121:122], s[2:3], v[109:110]
	v_mul_f64_e32 v[123:124], s[2:3], v[111:112]
	v_add_f64_e64 v[89:90], v[93:94], -v[89:90]
	v_add_f64_e64 v[91:92], v[95:96], -v[91:92]
	v_add_f64_e32 v[48:49], v[72:73], v[48:49]
	v_add_f64_e32 v[50:51], v[74:75], v[50:51]
	;; [unrolled: 1-line block ×4, first 2 shown]
	v_mul_f64_e32 v[105:106], s[10:11], v[105:106]
	v_mul_f64_e32 v[107:108], s[10:11], v[107:108]
	;; [unrolled: 1-line block ×6, first 2 shown]
	v_add_f64_e32 v[40:41], v[56:57], v[40:41]
	v_add_f64_e32 v[42:43], v[58:59], v[42:43]
	;; [unrolled: 1-line block ×4, first 2 shown]
	v_mul_f64_e32 v[93:94], s[6:7], v[60:61]
	v_mul_f64_e32 v[95:96], s[6:7], v[62:63]
	v_fma_f64 v[56:57], v[76:77], s[6:7], v[64:65]
	v_fma_f64 v[58:59], v[78:79], s[6:7], v[66:67]
	;; [unrolled: 1-line block ×4, first 2 shown]
	v_fma_f64 v[72:73], v[97:98], s[16:17], -v[101:102]
	v_fma_f64 v[74:75], v[99:100], s[16:17], -v[103:104]
	v_fma_f64 v[64:65], v[97:98], s[18:19], -v[64:65]
	v_fma_f64 v[66:67], v[99:100], s[18:19], -v[66:67]
	s_wait_alu 0xfffe
	v_fma_f64 v[44:45], v[44:45], s[22:23], -v[121:122]
	v_fma_f64 v[46:47], v[46:47], s[22:23], -v[123:124]
	;; [unrolled: 1-line block ×4, first 2 shown]
	v_fma_f64 v[68:69], v[68:69], s[12:13], v[32:33]
	v_fma_f64 v[70:71], v[70:71], s[12:13], v[34:35]
	;; [unrolled: 1-line block ×6, first 2 shown]
	v_fma_f64 v[101:102], v[117:118], s[2:3], -v[113:114]
	v_fma_f64 v[103:104], v[119:120], s[2:3], -v[115:116]
	;; [unrolled: 1-line block ×4, first 2 shown]
	v_fma_f64 v[52:53], v[52:53], s[12:13], v[28:29]
	v_fma_f64 v[54:55], v[54:55], s[12:13], v[30:31]
	v_fma_f64 v[105:106], v[89:90], s[18:19], -v[105:106]
	v_fma_f64 v[107:108], v[91:92], s[18:19], -v[107:108]
	;; [unrolled: 1-line block ×4, first 2 shown]
	v_fma_f64 v[76:77], v[48:49], s[24:25], v[76:77]
	v_fma_f64 v[78:79], v[50:51], s[24:25], v[78:79]
	;; [unrolled: 1-line block ×6, first 2 shown]
	v_add_f64_e32 v[56:57], v[56:57], v[68:69]
	v_add_f64_e32 v[58:59], v[58:59], v[70:71]
	;; [unrolled: 1-line block ×6, first 2 shown]
	v_fma_f64 v[97:98], v[40:41], s[24:25], v[97:98]
	v_fma_f64 v[99:100], v[42:43], s[24:25], v[99:100]
	;; [unrolled: 1-line block ×6, first 2 shown]
	v_add_f64_e32 v[109:110], v[60:61], v[52:53]
	v_add_f64_e32 v[111:112], v[62:63], v[54:55]
	;; [unrolled: 1-line block ×7, first 2 shown]
	v_add_f64_e64 v[38:39], v[58:59], -v[76:77]
	v_add_f64_e32 v[40:41], v[95:96], v[64:65]
	v_add_f64_e64 v[42:43], v[66:67], -v[93:94]
	v_add_f64_e64 v[52:53], v[64:65], -v[95:96]
	v_add_f64_e32 v[54:55], v[93:94], v[66:67]
	v_add_f64_e64 v[44:45], v[48:49], -v[82:83]
	v_add_f64_e32 v[46:47], v[80:81], v[50:51]
	v_add_f64_e32 v[48:49], v[82:83], v[48:49]
	v_add_f64_e64 v[50:51], v[50:51], -v[80:81]
	v_add_f64_e64 v[56:57], v[56:57], -v[78:79]
	v_add_f64_e32 v[58:59], v[76:77], v[58:59]
	v_add_f64_e32 v[60:61], v[99:100], v[109:110]
	v_add_f64_e64 v[62:63], v[111:112], -v[97:98]
	v_add_f64_e32 v[64:65], v[103:104], v[105:106]
	v_add_f64_e64 v[66:67], v[107:108], -v[101:102]
	v_add_f64_e64 v[68:69], v[89:90], -v[72:73]
	v_add_f64_e32 v[70:71], v[74:75], v[91:92]
	v_add_f64_e32 v[72:73], v[72:73], v[89:90]
	v_add_f64_e64 v[74:75], v[91:92], -v[74:75]
	v_add_f64_e64 v[76:77], v[105:106], -v[103:104]
	v_add_f64_e32 v[78:79], v[101:102], v[107:108]
	v_add_f64_e64 v[80:81], v[109:110], -v[99:100]
	v_add_f64_e32 v[82:83], v[97:98], v[111:112]
	ds_store_b128 v88, v[32:35]
	ds_store_b128 v88, v[28:31] offset:896
	ds_store_b128 v88, v[36:39] offset:1920
	;; [unrolled: 1-line block ×13, first 2 shown]
	s_and_saveexec_b32 s1, s0
	s_cbranch_execz .LBB0_33
; %bb.32:
	v_dual_mov_b32 v29, 0 :: v_dual_add_nc_u32 v28, -8, v84
	s_delay_alu instid0(VALU_DEP_1) | instskip(NEXT) | instid1(VALU_DEP_1)
	v_cndmask_b32_e64 v28, v28, v85, s0
	v_mul_i32_i24_e32 v28, 6, v28
	s_delay_alu instid0(VALU_DEP_1) | instskip(NEXT) | instid1(VALU_DEP_1)
	v_lshlrev_b64_e32 v[28:29], 4, v[28:29]
	v_add_co_u32 v48, s0, s4, v28
	s_wait_alu 0xf1ff
	s_delay_alu instid0(VALU_DEP_2)
	v_add_co_ci_u32_e64 v49, s0, s5, v29, s0
	s_clause 0x5
	global_load_b128 v[28:31], v[48:49], off offset:1904
	global_load_b128 v[32:35], v[48:49], off offset:1952
	;; [unrolled: 1-line block ×6, first 2 shown]
	s_wait_loadcnt 0x5
	v_mul_f64_e32 v[52:53], v[8:9], v[30:31]
	s_wait_loadcnt 0x4
	v_mul_f64_e32 v[54:55], v[20:21], v[34:35]
	s_wait_loadcnt 0x3
	v_mul_f64_e32 v[56:57], v[0:1], v[38:39]
	s_wait_loadcnt 0x2
	v_mul_f64_e32 v[58:59], v[24:25], v[42:43]
	v_mul_f64_e32 v[30:31], v[10:11], v[30:31]
	v_mul_f64_e32 v[34:35], v[22:23], v[34:35]
	;; [unrolled: 1-line block ×4, first 2 shown]
	s_wait_loadcnt 0x1
	v_mul_f64_e32 v[60:61], v[18:19], v[46:47]
	s_wait_loadcnt 0x0
	v_mul_f64_e32 v[62:63], v[14:15], v[50:51]
	v_mul_f64_e32 v[50:51], v[12:13], v[50:51]
	;; [unrolled: 1-line block ×3, first 2 shown]
	v_fma_f64 v[10:11], v[10:11], v[28:29], v[52:53]
	v_fma_f64 v[22:23], v[22:23], v[32:33], v[54:55]
	;; [unrolled: 1-line block ×4, first 2 shown]
	v_fma_f64 v[8:9], v[8:9], v[28:29], -v[30:31]
	v_fma_f64 v[20:21], v[20:21], v[32:33], -v[34:35]
	;; [unrolled: 1-line block ×6, first 2 shown]
	v_fma_f64 v[14:15], v[14:15], v[48:49], v[50:51]
	v_fma_f64 v[18:19], v[18:19], v[44:45], v[46:47]
	v_add_f64_e32 v[28:29], v[10:11], v[22:23]
	v_add_f64_e64 v[10:11], v[10:11], -v[22:23]
	v_add_f64_e32 v[30:31], v[2:3], v[26:27]
	v_add_f64_e32 v[32:33], v[8:9], v[20:21]
	v_add_f64_e64 v[8:9], v[8:9], -v[20:21]
	v_add_f64_e32 v[34:35], v[0:1], v[24:25]
	v_add_f64_e64 v[36:37], v[16:17], -v[12:13]
	v_add_f64_e32 v[12:13], v[12:13], v[16:17]
	v_add_f64_e32 v[20:21], v[14:15], v[18:19]
	v_add_f64_e64 v[16:17], v[0:1], -v[24:25]
	v_add_f64_e64 v[14:15], v[18:19], -v[14:15]
	;; [unrolled: 1-line block ×3, first 2 shown]
	v_add_f64_e32 v[0:1], v[28:29], v[30:31]
	v_add_f64_e32 v[2:3], v[32:33], v[34:35]
	v_add_f64_e64 v[22:23], v[36:37], -v[8:9]
	v_add_f64_e64 v[26:27], v[34:35], -v[12:13]
	;; [unrolled: 1-line block ×4, first 2 shown]
	v_add_f64_e32 v[8:9], v[36:37], v[8:9]
	v_add_f64_e64 v[42:43], v[10:11], -v[18:19]
	v_add_f64_e64 v[36:37], v[16:17], -v[36:37]
	v_add_f64_e32 v[40:41], v[20:21], v[0:1]
	v_add_f64_e64 v[20:21], v[20:21], -v[28:29]
	v_add_f64_e64 v[0:1], v[14:15], -v[10:11]
	v_add_f64_e32 v[10:11], v[14:15], v[10:11]
	v_add_f64_e32 v[44:45], v[12:13], v[2:3]
	v_add_f64_e64 v[12:13], v[12:13], -v[32:33]
	v_mul_f64_e32 v[22:23], s[14:15], v[22:23]
	v_mul_f64_e32 v[26:27], s[10:11], v[26:27]
	;; [unrolled: 1-line block ×4, first 2 shown]
	v_add_f64_e64 v[14:15], v[18:19], -v[14:15]
	v_mul_f64_e32 v[48:49], s[2:3], v[42:43]
	v_add_f64_e32 v[8:9], v[8:9], v[16:17]
	v_add_f64_e32 v[2:3], v[6:7], v[40:41]
	v_add_f64_e64 v[6:7], v[28:29], -v[30:31]
	v_mul_f64_e32 v[28:29], s[6:7], v[20:21]
	v_mul_f64_e32 v[30:31], s[14:15], v[0:1]
	v_add_f64_e32 v[0:1], v[4:5], v[44:45]
	v_add_f64_e64 v[4:5], v[32:33], -v[34:35]
	v_mul_f64_e32 v[32:33], s[6:7], v[12:13]
	v_add_f64_e32 v[10:11], v[10:11], v[18:19]
	v_fma_f64 v[16:17], v[36:37], s[20:21], v[22:23]
	v_fma_f64 v[18:19], v[20:21], s[6:7], v[24:25]
	;; [unrolled: 1-line block ×3, first 2 shown]
	v_fma_f64 v[20:21], v[36:37], s[22:23], -v[46:47]
	v_fma_f64 v[22:23], v[38:39], s[2:3], -v[22:23]
	v_fma_f64 v[34:35], v[40:41], s[12:13], v[2:3]
	v_fma_f64 v[24:25], v[6:7], s[18:19], -v[24:25]
	v_fma_f64 v[6:7], v[6:7], s[16:17], -v[28:29]
	v_fma_f64 v[28:29], v[14:15], s[20:21], v[30:31]
	v_fma_f64 v[36:37], v[44:45], s[12:13], v[0:1]
	v_fma_f64 v[14:15], v[14:15], s[22:23], -v[48:49]
	v_fma_f64 v[26:27], v[4:5], s[18:19], -v[26:27]
	;; [unrolled: 1-line block ×4, first 2 shown]
	v_fma_f64 v[16:17], v[8:9], s[24:25], v[16:17]
	v_fma_f64 v[20:21], v[8:9], s[24:25], v[20:21]
	;; [unrolled: 1-line block ×3, first 2 shown]
	v_add_f64_e32 v[32:33], v[18:19], v[34:35]
	v_add_f64_e32 v[22:23], v[24:25], v[34:35]
	;; [unrolled: 1-line block ×3, first 2 shown]
	v_fma_f64 v[28:29], v[10:11], s[24:25], v[28:29]
	v_add_f64_e32 v[38:39], v[12:13], v[36:37]
	v_fma_f64 v[34:35], v[10:11], s[24:25], v[14:15]
	v_add_f64_e32 v[40:41], v[26:27], v[36:37]
	;; [unrolled: 2-line block ×3, first 2 shown]
	v_add_f64_e64 v[26:27], v[32:33], -v[16:17]
	v_add_f64_e32 v[10:11], v[20:21], v[22:23]
	v_add_f64_e64 v[22:23], v[22:23], -v[20:21]
	v_add_f64_e32 v[6:7], v[16:17], v[32:33]
	v_add_f64_e32 v[24:25], v[28:29], v[38:39]
	v_add_f64_e64 v[14:15], v[18:19], -v[8:9]
	v_add_f64_e32 v[20:21], v[34:35], v[40:41]
	;; [unrolled: 3-line block ×3, first 2 shown]
	v_add_f64_e64 v[8:9], v[40:41], -v[34:35]
	v_add_f64_e64 v[4:5], v[38:39], -v[28:29]
	ds_store_b128 v88, v[0:3] offset:1792
	ds_store_b128 v88, v[24:27] offset:3712
	;; [unrolled: 1-line block ×7, first 2 shown]
.LBB0_33:
	s_wait_alu 0xfffe
	s_or_b32 exec_lo, exec_lo, s1
	global_wb scope:SCOPE_SE
	s_wait_dscnt 0x0
	s_barrier_signal -1
	s_barrier_wait -1
	global_inv scope:SCOPE_SE
	s_and_saveexec_b32 s0, vcc_lo
	s_cbranch_execz .LBB0_35
; %bb.34:
	v_lshl_add_u32 v28, v84, 4, 0
	v_dual_mov_b32 v85, 0 :: v_dual_add_nc_u32 v8, 56, v84
	v_add_co_u32 v30, vcc_lo, s8, v86
	ds_load_b128 v[0:3], v28
	ds_load_b128 v[4:7], v28 offset:896
	v_dual_mov_b32 v9, v85 :: v_dual_add_nc_u32 v12, 0x70, v84
	v_lshlrev_b64_e32 v[10:11], 4, v[84:85]
	s_wait_alu 0xfffd
	v_add_co_ci_u32_e32 v31, vcc_lo, s9, v87, vcc_lo
	s_delay_alu instid0(VALU_DEP_3) | instskip(SKIP_1) | instid1(VALU_DEP_4)
	v_lshlrev_b64_e32 v[8:9], 4, v[8:9]
	v_dual_mov_b32 v13, v85 :: v_dual_add_nc_u32 v14, 0xa8, v84
	v_add_co_u32 v10, vcc_lo, v30, v10
	s_wait_alu 0xfffd
	v_add_co_ci_u32_e32 v11, vcc_lo, v31, v11, vcc_lo
	s_delay_alu instid0(VALU_DEP_4)
	v_add_co_u32 v8, vcc_lo, v30, v8
	s_wait_alu 0xfffd
	v_add_co_ci_u32_e32 v9, vcc_lo, v31, v9, vcc_lo
	v_lshlrev_b64_e32 v[12:13], 4, v[12:13]
	v_mov_b32_e32 v15, v85
	v_dual_mov_b32 v23, v85 :: v_dual_add_nc_u32 v24, 0x150, v84
	s_wait_dscnt 0x1
	global_store_b128 v[10:11], v[0:3], off
	s_wait_dscnt 0x0
	global_store_b128 v[8:9], v[4:7], off
	v_dual_mov_b32 v9, v85 :: v_dual_add_nc_u32 v8, 0xe0, v84
	v_add_nc_u32_e32 v22, 0x118, v84
	v_add_co_u32 v16, vcc_lo, v30, v12
	s_wait_alu 0xfffd
	v_add_co_ci_u32_e32 v17, vcc_lo, v31, v13, vcc_lo
	ds_load_b128 v[0:3], v28 offset:1792
	ds_load_b128 v[4:7], v28 offset:2688
	v_lshlrev_b64_e32 v[18:19], 4, v[14:15]
	v_lshlrev_b64_e32 v[20:21], 4, v[8:9]
	ds_load_b128 v[8:11], v28 offset:3584
	ds_load_b128 v[12:15], v28 offset:4480
	v_lshlrev_b64_e32 v[22:23], 4, v[22:23]
	v_mov_b32_e32 v25, v85
	v_add_co_u32 v18, vcc_lo, v30, v18
	s_wait_alu 0xfffd
	v_add_co_ci_u32_e32 v19, vcc_lo, v31, v19, vcc_lo
	v_add_co_u32 v20, vcc_lo, v30, v20
	s_wait_alu 0xfffd
	v_add_co_ci_u32_e32 v21, vcc_lo, v31, v21, vcc_lo
	;; [unrolled: 3-line block ×3, first 2 shown]
	s_wait_dscnt 0x3
	global_store_b128 v[16:17], v[0:3], off
	s_wait_dscnt 0x2
	global_store_b128 v[18:19], v[4:7], off
	;; [unrolled: 2-line block ×4, first 2 shown]
	v_add_nc_u32_e32 v8, 0x188, v84
	v_lshlrev_b64_e32 v[0:1], 4, v[24:25]
	v_dual_mov_b32 v9, v85 :: v_dual_add_nc_u32 v10, 0x1c0, v84
	v_dual_mov_b32 v11, v85 :: v_dual_add_nc_u32 v22, 0x1f8, v84
	;; [unrolled: 1-line block ×3, first 2 shown]
	s_delay_alu instid0(VALU_DEP_4)
	v_add_co_u32 v16, vcc_lo, v30, v0
	s_wait_alu 0xfffd
	v_add_co_ci_u32_e32 v17, vcc_lo, v31, v1, vcc_lo
	ds_load_b128 v[0:3], v28 offset:5376
	ds_load_b128 v[4:7], v28 offset:6272
	v_lshlrev_b64_e32 v[18:19], 4, v[8:9]
	v_lshlrev_b64_e32 v[20:21], 4, v[10:11]
	ds_load_b128 v[8:11], v28 offset:7168
	ds_load_b128 v[12:15], v28 offset:8064
	v_lshlrev_b64_e32 v[22:23], 4, v[22:23]
	v_add_co_u32 v18, vcc_lo, v30, v18
	s_wait_alu 0xfffd
	v_add_co_ci_u32_e32 v19, vcc_lo, v31, v19, vcc_lo
	v_add_co_u32 v20, vcc_lo, v30, v20
	s_wait_alu 0xfffd
	v_add_co_ci_u32_e32 v21, vcc_lo, v31, v21, vcc_lo
	v_add_co_u32 v22, vcc_lo, v30, v22
	s_wait_dscnt 0x3
	global_store_b128 v[16:17], v[0:3], off
	s_wait_dscnt 0x2
	global_store_b128 v[18:19], v[4:7], off
	v_dual_mov_b32 v3, v85 :: v_dual_add_nc_u32 v2, 0x268, v84
	s_wait_alu 0xfffd
	v_add_co_ci_u32_e32 v23, vcc_lo, v31, v23, vcc_lo
	v_lshlrev_b64_e32 v[0:1], 4, v[24:25]
	s_wait_dscnt 0x1
	global_store_b128 v[20:21], v[8:11], off
	s_wait_dscnt 0x0
	global_store_b128 v[22:23], v[12:15], off
	v_lshlrev_b64_e32 v[8:9], 4, v[2:3]
	v_dual_mov_b32 v11, v85 :: v_dual_add_nc_u32 v10, 0x2a0, v84
	v_add_co_u32 v20, vcc_lo, v30, v0
	s_wait_alu 0xfffd
	v_add_co_ci_u32_e32 v21, vcc_lo, v31, v1, vcc_lo
	s_delay_alu instid0(VALU_DEP_4)
	v_add_co_u32 v22, vcc_lo, v30, v8
	ds_load_b128 v[0:3], v28 offset:8960
	ds_load_b128 v[4:7], v28 offset:9856
	s_wait_alu 0xfffd
	v_add_co_ci_u32_e32 v23, vcc_lo, v31, v9, vcc_lo
	v_lshlrev_b64_e32 v[26:27], 4, v[10:11]
	ds_load_b128 v[8:11], v28 offset:10752
	ds_load_b128 v[12:15], v28 offset:11648
	;; [unrolled: 1-line block ×3, first 2 shown]
	v_add_nc_u32_e32 v24, 0x2d8, v84
	v_add_nc_u32_e32 v84, 0x310, v84
	v_add_co_u32 v26, vcc_lo, v30, v26
	s_delay_alu instid0(VALU_DEP_3) | instskip(NEXT) | instid1(VALU_DEP_3)
	v_lshlrev_b64_e32 v[24:25], 4, v[24:25]
	v_lshlrev_b64_e32 v[28:29], 4, v[84:85]
	s_wait_alu 0xfffd
	v_add_co_ci_u32_e32 v27, vcc_lo, v31, v27, vcc_lo
	s_delay_alu instid0(VALU_DEP_3)
	v_add_co_u32 v24, vcc_lo, v30, v24
	s_wait_alu 0xfffd
	v_add_co_ci_u32_e32 v25, vcc_lo, v31, v25, vcc_lo
	v_add_co_u32 v28, vcc_lo, v30, v28
	s_wait_alu 0xfffd
	v_add_co_ci_u32_e32 v29, vcc_lo, v31, v29, vcc_lo
	s_wait_dscnt 0x4
	global_store_b128 v[20:21], v[0:3], off
	s_wait_dscnt 0x3
	global_store_b128 v[22:23], v[4:7], off
	;; [unrolled: 2-line block ×5, first 2 shown]
.LBB0_35:
	s_nop 0
	s_sendmsg sendmsg(MSG_DEALLOC_VGPRS)
	s_endpgm
	.section	.rodata,"a",@progbits
	.p2align	6, 0x0
	.amdhsa_kernel fft_rtc_fwd_len840_factors_2_2_2_3_5_7_wgs_56_tpt_56_halfLds_dp_ip_CI_unitstride_sbrr_C2R_dirReg
		.amdhsa_group_segment_fixed_size 0
		.amdhsa_private_segment_fixed_size 0
		.amdhsa_kernarg_size 88
		.amdhsa_user_sgpr_count 2
		.amdhsa_user_sgpr_dispatch_ptr 0
		.amdhsa_user_sgpr_queue_ptr 0
		.amdhsa_user_sgpr_kernarg_segment_ptr 1
		.amdhsa_user_sgpr_dispatch_id 0
		.amdhsa_user_sgpr_private_segment_size 0
		.amdhsa_wavefront_size32 1
		.amdhsa_uses_dynamic_stack 0
		.amdhsa_enable_private_segment 0
		.amdhsa_system_sgpr_workgroup_id_x 1
		.amdhsa_system_sgpr_workgroup_id_y 0
		.amdhsa_system_sgpr_workgroup_id_z 0
		.amdhsa_system_sgpr_workgroup_info 0
		.amdhsa_system_vgpr_workitem_id 0
		.amdhsa_next_free_vgpr 163
		.amdhsa_next_free_sgpr 32
		.amdhsa_reserve_vcc 1
		.amdhsa_float_round_mode_32 0
		.amdhsa_float_round_mode_16_64 0
		.amdhsa_float_denorm_mode_32 3
		.amdhsa_float_denorm_mode_16_64 3
		.amdhsa_fp16_overflow 0
		.amdhsa_workgroup_processor_mode 1
		.amdhsa_memory_ordered 1
		.amdhsa_forward_progress 0
		.amdhsa_round_robin_scheduling 0
		.amdhsa_exception_fp_ieee_invalid_op 0
		.amdhsa_exception_fp_denorm_src 0
		.amdhsa_exception_fp_ieee_div_zero 0
		.amdhsa_exception_fp_ieee_overflow 0
		.amdhsa_exception_fp_ieee_underflow 0
		.amdhsa_exception_fp_ieee_inexact 0
		.amdhsa_exception_int_div_zero 0
	.end_amdhsa_kernel
	.text
.Lfunc_end0:
	.size	fft_rtc_fwd_len840_factors_2_2_2_3_5_7_wgs_56_tpt_56_halfLds_dp_ip_CI_unitstride_sbrr_C2R_dirReg, .Lfunc_end0-fft_rtc_fwd_len840_factors_2_2_2_3_5_7_wgs_56_tpt_56_halfLds_dp_ip_CI_unitstride_sbrr_C2R_dirReg
                                        ; -- End function
	.section	.AMDGPU.csdata,"",@progbits
; Kernel info:
; codeLenInByte = 13332
; NumSgprs: 34
; NumVgprs: 163
; ScratchSize: 0
; MemoryBound: 0
; FloatMode: 240
; IeeeMode: 1
; LDSByteSize: 0 bytes/workgroup (compile time only)
; SGPRBlocks: 4
; VGPRBlocks: 20
; NumSGPRsForWavesPerEU: 34
; NumVGPRsForWavesPerEU: 163
; Occupancy: 9
; WaveLimiterHint : 1
; COMPUTE_PGM_RSRC2:SCRATCH_EN: 0
; COMPUTE_PGM_RSRC2:USER_SGPR: 2
; COMPUTE_PGM_RSRC2:TRAP_HANDLER: 0
; COMPUTE_PGM_RSRC2:TGID_X_EN: 1
; COMPUTE_PGM_RSRC2:TGID_Y_EN: 0
; COMPUTE_PGM_RSRC2:TGID_Z_EN: 0
; COMPUTE_PGM_RSRC2:TIDIG_COMP_CNT: 0
	.text
	.p2alignl 7, 3214868480
	.fill 96, 4, 3214868480
	.type	__hip_cuid_c20224778a7acfd8,@object ; @__hip_cuid_c20224778a7acfd8
	.section	.bss,"aw",@nobits
	.globl	__hip_cuid_c20224778a7acfd8
__hip_cuid_c20224778a7acfd8:
	.byte	0                               ; 0x0
	.size	__hip_cuid_c20224778a7acfd8, 1

	.ident	"AMD clang version 19.0.0git (https://github.com/RadeonOpenCompute/llvm-project roc-6.4.0 25133 c7fe45cf4b819c5991fe208aaa96edf142730f1d)"
	.section	".note.GNU-stack","",@progbits
	.addrsig
	.addrsig_sym __hip_cuid_c20224778a7acfd8
	.amdgpu_metadata
---
amdhsa.kernels:
  - .args:
      - .actual_access:  read_only
        .address_space:  global
        .offset:         0
        .size:           8
        .value_kind:     global_buffer
      - .offset:         8
        .size:           8
        .value_kind:     by_value
      - .actual_access:  read_only
        .address_space:  global
        .offset:         16
        .size:           8
        .value_kind:     global_buffer
      - .actual_access:  read_only
        .address_space:  global
        .offset:         24
        .size:           8
        .value_kind:     global_buffer
      - .offset:         32
        .size:           8
        .value_kind:     by_value
      - .actual_access:  read_only
        .address_space:  global
        .offset:         40
        .size:           8
        .value_kind:     global_buffer
      - .actual_access:  read_only
        .address_space:  global
        .offset:         48
        .size:           8
        .value_kind:     global_buffer
      - .offset:         56
        .size:           4
        .value_kind:     by_value
      - .actual_access:  read_only
        .address_space:  global
        .offset:         64
        .size:           8
        .value_kind:     global_buffer
      - .actual_access:  read_only
        .address_space:  global
        .offset:         72
        .size:           8
        .value_kind:     global_buffer
      - .address_space:  global
        .offset:         80
        .size:           8
        .value_kind:     global_buffer
    .group_segment_fixed_size: 0
    .kernarg_segment_align: 8
    .kernarg_segment_size: 88
    .language:       OpenCL C
    .language_version:
      - 2
      - 0
    .max_flat_workgroup_size: 56
    .name:           fft_rtc_fwd_len840_factors_2_2_2_3_5_7_wgs_56_tpt_56_halfLds_dp_ip_CI_unitstride_sbrr_C2R_dirReg
    .private_segment_fixed_size: 0
    .sgpr_count:     34
    .sgpr_spill_count: 0
    .symbol:         fft_rtc_fwd_len840_factors_2_2_2_3_5_7_wgs_56_tpt_56_halfLds_dp_ip_CI_unitstride_sbrr_C2R_dirReg.kd
    .uniform_work_group_size: 1
    .uses_dynamic_stack: false
    .vgpr_count:     163
    .vgpr_spill_count: 0
    .wavefront_size: 32
    .workgroup_processor_mode: 1
amdhsa.target:   amdgcn-amd-amdhsa--gfx1201
amdhsa.version:
  - 1
  - 2
...

	.end_amdgpu_metadata
